;; amdgpu-corpus repo=ROCm/rocFFT kind=compiled arch=gfx906 opt=O3
	.text
	.amdgcn_target "amdgcn-amd-amdhsa--gfx906"
	.amdhsa_code_object_version 6
	.protected	fft_rtc_fwd_len176_factors_11_16_wgs_64_tpt_16_halfLds_half_ip_CI_sbrr_dirReg ; -- Begin function fft_rtc_fwd_len176_factors_11_16_wgs_64_tpt_16_halfLds_half_ip_CI_sbrr_dirReg
	.globl	fft_rtc_fwd_len176_factors_11_16_wgs_64_tpt_16_halfLds_half_ip_CI_sbrr_dirReg
	.p2align	8
	.type	fft_rtc_fwd_len176_factors_11_16_wgs_64_tpt_16_halfLds_half_ip_CI_sbrr_dirReg,@function
fft_rtc_fwd_len176_factors_11_16_wgs_64_tpt_16_halfLds_half_ip_CI_sbrr_dirReg: ; @fft_rtc_fwd_len176_factors_11_16_wgs_64_tpt_16_halfLds_half_ip_CI_sbrr_dirReg
; %bb.0:
	s_load_dwordx2 s[14:15], s[4:5], 0x18
	s_load_dwordx4 s[8:11], s[4:5], 0x0
	s_load_dwordx2 s[12:13], s[4:5], 0x50
	v_lshrrev_b32_e32 v9, 4, v0
	v_mov_b32_e32 v3, 0
	s_waitcnt lgkmcnt(0)
	s_load_dwordx2 s[2:3], s[14:15], 0x0
	v_cmp_lt_u64_e64 s[0:1], s[10:11], 2
	v_mov_b32_e32 v1, 0
	v_lshl_or_b32 v5, s6, 2, v9
	v_mov_b32_e32 v6, v3
	s_and_b64 vcc, exec, s[0:1]
	v_mov_b32_e32 v2, 0
	s_cbranch_vccnz .LBB0_8
; %bb.1:
	s_load_dwordx2 s[0:1], s[4:5], 0x10
	s_add_u32 s6, s14, 8
	s_addc_u32 s7, s15, 0
	v_mov_b32_e32 v1, 0
	v_mov_b32_e32 v2, 0
	s_waitcnt lgkmcnt(0)
	s_add_u32 s16, s0, 8
	s_addc_u32 s17, s1, 0
	s_mov_b64 s[18:19], 1
.LBB0_2:                                ; =>This Inner Loop Header: Depth=1
	s_load_dwordx2 s[20:21], s[16:17], 0x0
                                        ; implicit-def: $vgpr7_vgpr8
	s_waitcnt lgkmcnt(0)
	v_or_b32_e32 v4, s21, v6
	v_cmp_ne_u64_e32 vcc, 0, v[3:4]
	s_and_saveexec_b64 s[0:1], vcc
	s_xor_b64 s[22:23], exec, s[0:1]
	s_cbranch_execz .LBB0_4
; %bb.3:                                ;   in Loop: Header=BB0_2 Depth=1
	v_cvt_f32_u32_e32 v4, s20
	v_cvt_f32_u32_e32 v7, s21
	s_sub_u32 s0, 0, s20
	s_subb_u32 s1, 0, s21
	v_mac_f32_e32 v4, 0x4f800000, v7
	v_rcp_f32_e32 v4, v4
	v_mul_f32_e32 v4, 0x5f7ffffc, v4
	v_mul_f32_e32 v7, 0x2f800000, v4
	v_trunc_f32_e32 v7, v7
	v_mac_f32_e32 v4, 0xcf800000, v7
	v_cvt_u32_f32_e32 v7, v7
	v_cvt_u32_f32_e32 v4, v4
	v_mul_lo_u32 v8, s0, v7
	v_mul_hi_u32 v10, s0, v4
	v_mul_lo_u32 v12, s1, v4
	v_mul_lo_u32 v11, s0, v4
	v_add_u32_e32 v8, v10, v8
	v_add_u32_e32 v8, v8, v12
	v_mul_hi_u32 v10, v4, v11
	v_mul_lo_u32 v12, v4, v8
	v_mul_hi_u32 v14, v4, v8
	v_mul_hi_u32 v13, v7, v11
	v_mul_lo_u32 v11, v7, v11
	v_mul_hi_u32 v15, v7, v8
	v_add_co_u32_e32 v10, vcc, v10, v12
	v_addc_co_u32_e32 v12, vcc, 0, v14, vcc
	v_mul_lo_u32 v8, v7, v8
	v_add_co_u32_e32 v10, vcc, v10, v11
	v_addc_co_u32_e32 v10, vcc, v12, v13, vcc
	v_addc_co_u32_e32 v11, vcc, 0, v15, vcc
	v_add_co_u32_e32 v8, vcc, v10, v8
	v_addc_co_u32_e32 v10, vcc, 0, v11, vcc
	v_add_co_u32_e32 v4, vcc, v4, v8
	v_addc_co_u32_e32 v7, vcc, v7, v10, vcc
	v_mul_lo_u32 v8, s0, v7
	v_mul_hi_u32 v10, s0, v4
	v_mul_lo_u32 v11, s1, v4
	v_mul_lo_u32 v12, s0, v4
	v_add_u32_e32 v8, v10, v8
	v_add_u32_e32 v8, v8, v11
	v_mul_lo_u32 v13, v4, v8
	v_mul_hi_u32 v14, v4, v12
	v_mul_hi_u32 v15, v4, v8
	;; [unrolled: 1-line block ×3, first 2 shown]
	v_mul_lo_u32 v12, v7, v12
	v_mul_hi_u32 v10, v7, v8
	v_add_co_u32_e32 v13, vcc, v14, v13
	v_addc_co_u32_e32 v14, vcc, 0, v15, vcc
	v_mul_lo_u32 v8, v7, v8
	v_add_co_u32_e32 v12, vcc, v13, v12
	v_addc_co_u32_e32 v11, vcc, v14, v11, vcc
	v_addc_co_u32_e32 v10, vcc, 0, v10, vcc
	v_add_co_u32_e32 v8, vcc, v11, v8
	v_addc_co_u32_e32 v10, vcc, 0, v10, vcc
	v_add_co_u32_e32 v4, vcc, v4, v8
	v_addc_co_u32_e32 v10, vcc, v7, v10, vcc
	v_mad_u64_u32 v[7:8], s[0:1], v5, v10, 0
	v_mul_hi_u32 v11, v5, v4
	v_add_co_u32_e32 v12, vcc, v11, v7
	v_addc_co_u32_e32 v13, vcc, 0, v8, vcc
	v_mad_u64_u32 v[7:8], s[0:1], v6, v4, 0
	v_mad_u64_u32 v[10:11], s[0:1], v6, v10, 0
	v_add_co_u32_e32 v4, vcc, v12, v7
	v_addc_co_u32_e32 v4, vcc, v13, v8, vcc
	v_addc_co_u32_e32 v7, vcc, 0, v11, vcc
	v_add_co_u32_e32 v4, vcc, v4, v10
	v_addc_co_u32_e32 v10, vcc, 0, v7, vcc
	v_mul_lo_u32 v11, s21, v4
	v_mul_lo_u32 v12, s20, v10
	v_mad_u64_u32 v[7:8], s[0:1], s20, v4, 0
	v_add3_u32 v8, v8, v12, v11
	v_sub_u32_e32 v11, v6, v8
	v_mov_b32_e32 v12, s21
	v_sub_co_u32_e32 v7, vcc, v5, v7
	v_subb_co_u32_e64 v11, s[0:1], v11, v12, vcc
	v_subrev_co_u32_e64 v12, s[0:1], s20, v7
	v_subbrev_co_u32_e64 v11, s[0:1], 0, v11, s[0:1]
	v_cmp_le_u32_e64 s[0:1], s21, v11
	v_cndmask_b32_e64 v13, 0, -1, s[0:1]
	v_cmp_le_u32_e64 s[0:1], s20, v12
	v_cndmask_b32_e64 v12, 0, -1, s[0:1]
	v_cmp_eq_u32_e64 s[0:1], s21, v11
	v_cndmask_b32_e64 v11, v13, v12, s[0:1]
	v_add_co_u32_e64 v12, s[0:1], 2, v4
	v_addc_co_u32_e64 v13, s[0:1], 0, v10, s[0:1]
	v_add_co_u32_e64 v14, s[0:1], 1, v4
	v_addc_co_u32_e64 v15, s[0:1], 0, v10, s[0:1]
	v_subb_co_u32_e32 v8, vcc, v6, v8, vcc
	v_cmp_ne_u32_e64 s[0:1], 0, v11
	v_cmp_le_u32_e32 vcc, s21, v8
	v_cndmask_b32_e64 v11, v15, v13, s[0:1]
	v_cndmask_b32_e64 v13, 0, -1, vcc
	v_cmp_le_u32_e32 vcc, s20, v7
	v_cndmask_b32_e64 v7, 0, -1, vcc
	v_cmp_eq_u32_e32 vcc, s21, v8
	v_cndmask_b32_e32 v7, v13, v7, vcc
	v_cmp_ne_u32_e32 vcc, 0, v7
	v_cndmask_b32_e64 v7, v14, v12, s[0:1]
	v_cndmask_b32_e32 v8, v10, v11, vcc
	v_cndmask_b32_e32 v7, v4, v7, vcc
.LBB0_4:                                ;   in Loop: Header=BB0_2 Depth=1
	s_andn2_saveexec_b64 s[0:1], s[22:23]
	s_cbranch_execz .LBB0_6
; %bb.5:                                ;   in Loop: Header=BB0_2 Depth=1
	v_cvt_f32_u32_e32 v4, s20
	s_sub_i32 s22, 0, s20
	v_rcp_iflag_f32_e32 v4, v4
	v_mul_f32_e32 v4, 0x4f7ffffe, v4
	v_cvt_u32_f32_e32 v4, v4
	v_mul_lo_u32 v7, s22, v4
	v_mul_hi_u32 v7, v4, v7
	v_add_u32_e32 v4, v4, v7
	v_mul_hi_u32 v4, v5, v4
	v_mul_lo_u32 v7, v4, s20
	v_add_u32_e32 v8, 1, v4
	v_sub_u32_e32 v7, v5, v7
	v_subrev_u32_e32 v10, s20, v7
	v_cmp_le_u32_e32 vcc, s20, v7
	v_cndmask_b32_e32 v7, v7, v10, vcc
	v_cndmask_b32_e32 v4, v4, v8, vcc
	v_add_u32_e32 v8, 1, v4
	v_cmp_le_u32_e32 vcc, s20, v7
	v_cndmask_b32_e32 v7, v4, v8, vcc
	v_mov_b32_e32 v8, v3
.LBB0_6:                                ;   in Loop: Header=BB0_2 Depth=1
	s_or_b64 exec, exec, s[0:1]
	v_mul_lo_u32 v4, v8, s20
	v_mul_lo_u32 v12, v7, s21
	v_mad_u64_u32 v[10:11], s[0:1], v7, s20, 0
	s_load_dwordx2 s[0:1], s[6:7], 0x0
	s_add_u32 s18, s18, 1
	v_add3_u32 v4, v11, v12, v4
	v_sub_co_u32_e32 v5, vcc, v5, v10
	v_subb_co_u32_e32 v4, vcc, v6, v4, vcc
	s_waitcnt lgkmcnt(0)
	v_mul_lo_u32 v4, s0, v4
	v_mul_lo_u32 v6, s1, v5
	v_mad_u64_u32 v[1:2], s[0:1], s0, v5, v[1:2]
	s_addc_u32 s19, s19, 0
	s_add_u32 s6, s6, 8
	v_add3_u32 v2, v6, v2, v4
	v_mov_b32_e32 v4, s10
	v_mov_b32_e32 v5, s11
	s_addc_u32 s7, s7, 0
	v_cmp_ge_u64_e32 vcc, s[18:19], v[4:5]
	s_add_u32 s16, s16, 8
	s_addc_u32 s17, s17, 0
	s_cbranch_vccnz .LBB0_9
; %bb.7:                                ;   in Loop: Header=BB0_2 Depth=1
	v_mov_b32_e32 v5, v7
	v_mov_b32_e32 v6, v8
	s_branch .LBB0_2
.LBB0_8:
	v_mov_b32_e32 v8, v6
	v_mov_b32_e32 v7, v5
.LBB0_9:
	s_lshl_b64 s[0:1], s[10:11], 3
	s_add_u32 s0, s14, s0
	s_addc_u32 s1, s15, s1
	s_load_dwordx2 s[6:7], s[0:1], 0x0
	s_load_dwordx2 s[10:11], s[4:5], 0x20
	v_mov_b32_e32 v15, 0
                                        ; implicit-def: $vgpr36
                                        ; implicit-def: $vgpr30
                                        ; implicit-def: $vgpr35
                                        ; implicit-def: $vgpr29
                                        ; implicit-def: $vgpr34
                                        ; implicit-def: $vgpr28
                                        ; implicit-def: $vgpr32
                                        ; implicit-def: $vgpr26
                                        ; implicit-def: $vgpr20
                                        ; implicit-def: $vgpr25
                                        ; implicit-def: $vgpr21
                                        ; implicit-def: $vgpr27
                                        ; implicit-def: $vgpr22
                                        ; implicit-def: $vgpr31
                                        ; implicit-def: $vgpr23
                                        ; implicit-def: $vgpr33
                                        ; implicit-def: $vgpr24
                                        ; implicit-def: $vgpr37
                                        ; implicit-def: $vgpr38
	s_waitcnt lgkmcnt(0)
	v_mul_lo_u32 v3, s6, v8
	v_mul_lo_u32 v4, s7, v7
	v_mad_u64_u32 v[1:2], s[0:1], s6, v7, v[1:2]
	v_cmp_gt_u64_e32 vcc, s[10:11], v[7:8]
	v_and_b32_e32 v7, 15, v0
	v_add3_u32 v2, v4, v2, v3
	v_lshlrev_b64 v[5:6], 2, v[1:2]
                                        ; implicit-def: $vgpr0
	s_and_saveexec_b64 s[4:5], vcc
	s_cbranch_execz .LBB0_11
; %bb.10:
	v_mad_u64_u32 v[0:1], s[0:1], s2, v7, 0
	v_or_b32_e32 v8, 16, v7
	v_mov_b32_e32 v4, s13
	v_mad_u64_u32 v[1:2], s[0:1], s3, v7, v[1:2]
	v_mad_u64_u32 v[2:3], s[0:1], s2, v8, 0
	v_add_co_u32_e64 v36, s[0:1], s12, v5
	v_addc_co_u32_e64 v37, s[0:1], v4, v6, s[0:1]
	v_mad_u64_u32 v[3:4], s[0:1], s3, v8, v[3:4]
	v_or_b32_e32 v8, 32, v7
	v_mad_u64_u32 v[10:11], s[0:1], s2, v8, 0
	v_lshlrev_b64 v[0:1], 2, v[0:1]
	v_lshlrev_b64 v[2:3], 2, v[2:3]
	v_add_co_u32_e64 v0, s[0:1], v36, v0
	v_mov_b32_e32 v4, v11
	v_addc_co_u32_e64 v1, s[0:1], v37, v1, s[0:1]
	v_mad_u64_u32 v[11:12], s[0:1], s3, v8, v[4:5]
	v_or_b32_e32 v8, 48, v7
	v_mad_u64_u32 v[12:13], s[0:1], s2, v8, 0
	v_add_co_u32_e64 v2, s[0:1], v36, v2
	v_mov_b32_e32 v4, v13
	v_addc_co_u32_e64 v3, s[0:1], v37, v3, s[0:1]
	v_mad_u64_u32 v[13:14], s[0:1], s3, v8, v[4:5]
	v_or_b32_e32 v8, 64, v7
	v_mad_u64_u32 v[14:15], s[0:1], s2, v8, 0
	v_lshlrev_b64 v[10:11], 2, v[10:11]
	v_lshlrev_b64 v[12:13], 2, v[12:13]
	v_add_co_u32_e64 v10, s[0:1], v36, v10
	v_mov_b32_e32 v4, v15
	v_addc_co_u32_e64 v11, s[0:1], v37, v11, s[0:1]
	v_mad_u64_u32 v[15:16], s[0:1], s3, v8, v[4:5]
	v_or_b32_e32 v8, 0x50, v7
	v_mad_u64_u32 v[16:17], s[0:1], s2, v8, 0
	v_add_co_u32_e64 v12, s[0:1], v36, v12
	v_mov_b32_e32 v4, v17
	;; [unrolled: 14-line block ×3, first 2 shown]
	v_addc_co_u32_e64 v17, s[0:1], v37, v17, s[0:1]
	v_mad_u64_u32 v[21:22], s[0:1], s3, v8, v[4:5]
	v_or_b32_e32 v8, 0x80, v7
	v_mad_u64_u32 v[22:23], s[0:1], s2, v8, 0
	v_lshlrev_b64 v[18:19], 2, v[18:19]
	v_lshlrev_b64 v[20:21], 2, v[20:21]
	v_add_co_u32_e64 v18, s[0:1], v36, v18
	v_mov_b32_e32 v4, v23
	v_addc_co_u32_e64 v19, s[0:1], v37, v19, s[0:1]
	v_mad_u64_u32 v[23:24], s[0:1], s3, v8, v[4:5]
	v_add_co_u32_e64 v20, s[0:1], v36, v20
	v_or_b32_e32 v8, 0x90, v7
	v_addc_co_u32_e64 v21, s[0:1], v37, v21, s[0:1]
	v_mad_u64_u32 v[32:33], s[0:1], s2, v8, 0
	v_lshlrev_b64 v[22:23], 2, v[22:23]
	v_add_co_u32_e64 v22, s[0:1], v36, v22
	v_mov_b32_e32 v4, v33
	v_addc_co_u32_e64 v23, s[0:1], v37, v23, s[0:1]
	v_mad_u64_u32 v[24:25], s[0:1], s3, v8, v[4:5]
	v_or_b32_e32 v8, 0xa0, v7
	v_mad_u64_u32 v[34:35], s[0:1], s2, v8, 0
	global_load_dword v30, v[2:3], off
	global_load_dword v29, v[10:11], off
	;; [unrolled: 1-line block ×7, first 2 shown]
	v_mov_b32_e32 v33, v24
	v_mov_b32_e32 v4, v35
	v_mad_u64_u32 v[10:11], s[0:1], s3, v8, v[4:5]
	v_lshlrev_b64 v[2:3], 2, v[32:33]
	v_mov_b32_e32 v35, v10
	v_add_co_u32_e64 v2, s[0:1], v36, v2
	v_lshlrev_b64 v[10:11], 2, v[34:35]
	v_addc_co_u32_e64 v3, s[0:1], v37, v3, s[0:1]
	v_add_co_u32_e64 v10, s[0:1], v36, v10
	v_addc_co_u32_e64 v11, s[0:1], v37, v11, s[0:1]
	global_load_dword v33, v[22:23], off
	global_load_dword v37, v[2:3], off
	;; [unrolled: 1-line block ×4, first 2 shown]
	s_waitcnt vmcnt(10)
	v_lshrrev_b32_e32 v36, 16, v30
	s_waitcnt vmcnt(9)
	v_lshrrev_b32_e32 v35, 16, v29
	;; [unrolled: 2-line block ×10, first 2 shown]
.LBB0_11:
	s_or_b64 exec, exec, s[4:5]
	v_sub_f16_e32 v2, v36, v0
	v_add_f16_e32 v1, v30, v38
	s_mov_b32 s10, 0xbbad
	v_mul_f16_e32 v3, 0xb482, v2
	v_sub_f16_e32 v11, v35, v24
	v_fma_f16 v4, v1, s10, -v3
	v_add_f16_e32 v12, v29, v37
	s_movk_i32 s11, 0x3abb
	v_mul_f16_e32 v16, 0x3853, v11
	v_sub_f16_e32 v13, v34, v23
	s_waitcnt vmcnt(0)
	v_add_f16_e32 v4, v4, v15
	v_fma_f16 v8, v12, s11, -v16
	s_mov_b32 s14, 0xb93d
	v_add_f16_e32 v17, v28, v33
	v_mul_f16_e32 v18, 0xba0c, v13
	v_sub_f16_e32 v14, v32, v22
	v_add_f16_e32 v4, v8, v4
	v_fma_f16 v8, v17, s14, -v18
	s_movk_i32 s15, 0x36a6
	v_add_f16_e32 v19, v26, v31
	v_mul_f16_e32 v39, 0x3b47, v14
	s_mov_b32 s0, 0x36a63abb
	v_add_f16_e32 v4, v8, v4
	v_fma_f16 v8, v19, s15, -v39
	s_mov_b32 s1, 0xbb47b853
	v_pk_mul_f16 v10, v1, s0 op_sel_hi:[0,1]
	s_mov_b32 s0, 0xb93d36a6
	v_add_f16_e32 v4, v8, v4
	v_pk_fma_f16 v8, v2, s1, v10 op_sel_hi:[0,1,1] neg_lo:[1,0,0] neg_hi:[1,0,0]
	s_mov_b32 s4, 0xba0cbb47
	v_pk_mul_f16 v40, v12, s0 op_sel_hi:[0,1]
	v_pk_add_f16 v8, v8, v15 op_sel_hi:[1,0]
	v_pk_fma_f16 v41, v11, s4, v40 op_sel_hi:[0,1,1] neg_lo:[1,0,0] neg_hi:[1,0,0]
	s_mov_b32 s0, 0xbbadb08e
	v_pk_add_f16 v8, v41, v8
	s_mov_b32 s5, 0x3482bbeb
	v_pk_mul_f16 v41, v17, s0 op_sel_hi:[0,1]
	v_pk_fma_f16 v42, v13, s5, v41 op_sel_hi:[0,1,1] neg_lo:[1,0,0] neg_hi:[1,0,0]
	s_mov_b32 s0, 0xb08eb93d
	v_pk_add_f16 v8, v42, v8
	s_mov_b32 s6, 0x3bebba0c
	v_pk_mul_f16 v42, v19, s0 op_sel_hi:[0,1]
	v_pk_fma_f16 v10, v2, s1, v10 op_sel_hi:[0,1,1]
	v_pk_fma_f16 v43, v14, s6, v42 op_sel_hi:[0,1,1] neg_lo:[1,0,0] neg_hi:[1,0,0]
	v_pk_add_f16 v10, v10, v15 op_sel_hi:[1,0]
	v_pk_fma_f16 v40, v11, s4, v40 op_sel_hi:[0,1,1]
	v_pk_add_f16 v8, v43, v8
	s_mov_b32 s0, 0x3abbbbad
	v_add_f16_e32 v43, v25, v27
	v_pk_add_f16 v10, v40, v10
	v_pk_fma_f16 v40, v13, s5, v41 op_sel_hi:[0,1,1]
	s_mov_b32 s7, 0x3853b482
	v_sub_f16_e32 v44, v20, v21
	v_pk_mul_f16 v45, v43, s0 op_sel_hi:[0,1]
	v_pk_add_f16 v10, v40, v10
	v_pk_fma_f16 v40, v14, s6, v42 op_sel_hi:[0,1,1]
	v_pk_add_f16 v10, v40, v10
	v_pk_fma_f16 v40, v44, s7, v45 op_sel_hi:[0,1,1]
	s_mov_b32 s0, 0xb93db08e
	s_mov_b32 s1, 0xba0cbbeb
	v_pk_add_f16 v10, v40, v10
	v_pk_mul_f16 v2, v2, s1 op_sel_hi:[0,1]
	v_pk_mul_f16 v40, v1, s0 op_sel_hi:[0,1]
	s_mov_b32 s1, 0xb08ebbad
	s_mov_b32 s4, 0x3beb3482
	v_pk_fma_f16 v46, v44, s7, v45 op_sel_hi:[0,1,1] neg_lo:[1,0,0] neg_hi:[1,0,0]
	v_add_f16_e32 v41, v2, v40
	v_pk_mul_f16 v42, v11, s4 op_sel_hi:[0,1]
	v_pk_mul_f16 v45, v12, s1 op_sel_hi:[0,1]
	v_add_f16_e32 v41, v41, v15
	v_add_f16_e32 v11, v42, v45
	;; [unrolled: 1-line block ×3, first 2 shown]
	v_pk_fma_f16 v41, v1, s0, v2 op_sel_hi:[0,1,1] neg_lo:[0,0,1] neg_hi:[0,0,1]
	v_pk_add_f16 v8, v46, v8
	v_pk_add_f16 v41, v41, v15 op_sel_hi:[1,0]
	v_pk_fma_f16 v46, v12, s1, v42 op_sel_hi:[0,1,1] neg_lo:[0,0,1] neg_hi:[0,0,1]
	s_mov_b32 s0, 0x3abb36a6
	s_mov_b32 s1, 0xb8533b47
	;; [unrolled: 1-line block ×3, first 2 shown]
	v_mul_f16_e32 v1, 0xbbad, v1
	v_pk_add_f16 v41, v46, v41
	v_pk_mul_f16 v46, v13, s1 op_sel_hi:[0,1]
	v_pk_mul_f16 v47, v17, s0 op_sel_hi:[0,1]
	v_bfi_b32 v2, s6, v3, v2
	v_bfi_b32 v1, s6, v1, v40
	v_mul_f16_e32 v3, 0x3abb, v12
	v_add_f16_e32 v13, v46, v47
	v_pk_add_f16 v1, v2, v1
	v_bfi_b32 v2, s6, v16, v42
	v_bfi_b32 v3, s6, v3, v45
	v_add_f16_e32 v11, v13, v11
	v_pk_fma_f16 v13, v17, s0, v46 op_sel_hi:[0,1,1] neg_lo:[0,0,1] neg_hi:[0,0,1]
	s_mov_b32 s0, 0xbbad3abb
	s_mov_b32 s1, 0xb482b853
	v_pk_add_f16 v2, v2, v3
	v_pk_add_f16 v1, v1, v15 op_sel_hi:[1,0]
	v_mul_f16_e32 v3, 0xb93d, v17
	v_pk_add_f16 v13, v13, v41
	v_pk_mul_f16 v41, v14, s1 op_sel_hi:[0,1]
	v_pk_mul_f16 v48, v19, s0 op_sel_hi:[0,1]
	v_pk_add_f16 v1, v2, v1
	v_bfi_b32 v2, s6, v18, v46
	v_bfi_b32 v3, s6, v3, v47
	v_add_f16_e32 v14, v41, v48
	v_pk_add_f16 v2, v2, v3
	v_mul_f16_e32 v3, 0x36a6, v19
	v_add_f16_e32 v11, v14, v11
	v_pk_fma_f16 v14, v19, s0, v41 op_sel_hi:[0,1,1] neg_lo:[0,0,1] neg_hi:[0,0,1]
	s_mov_b32 s0, 0x36a6b93d
	s_mov_b32 s1, 0x3b47ba0c
	v_pk_add_f16 v1, v2, v1
	v_bfi_b32 v2, s6, v39, v41
	v_bfi_b32 v3, s6, v3, v48
	v_pk_mul_f16 v49, v43, s0 op_sel_hi:[0,1]
	v_pk_mul_f16 v50, v44, s1 op_sel_hi:[0,1]
	v_mul_f16_e32 v44, 0xbbeb, v44
	v_pk_add_f16 v2, v2, v3
	v_mul_f16_e32 v3, 0xb08e, v43
	v_pk_add_f16 v1, v2, v1
	v_bfi_b32 v2, s6, v44, v50
	v_bfi_b32 v3, s6, v3, v49
	v_mul_u32_u24_e32 v12, 0xb0, v9
	v_mad_u32_u24 v42, v7, 22, 0
	v_pk_add_f16 v2, v2, v3
	v_lshl_add_u32 v39, v12, 1, v42
	v_alignbit_b32 v3, v10, v10, 16
	ds_write_b32 v39, v3 offset:18
	v_add_f16_e32 v3, v30, v15
	v_add_f16_e32 v3, v29, v3
	;; [unrolled: 1-line block ×6, first 2 shown]
	v_pk_add_f16 v13, v14, v13
	v_add_f16_e32 v14, v50, v49
	v_add_f16_e32 v3, v31, v3
	;; [unrolled: 1-line block ×3, first 2 shown]
	v_pk_fma_f16 v11, v43, s0, v50 op_sel_hi:[0,1,1] neg_lo:[0,0,1] neg_hi:[0,0,1]
	s_mov_b32 s7, 0xb08e
	v_add_f16_e32 v3, v33, v3
	v_pk_add_f16 v11, v11, v13
	v_fma_f16 v13, v43, s7, -v44
	v_add_f16_e32 v3, v37, v3
	v_add_f16_e32 v13, v13, v4
	;; [unrolled: 1-line block ×3, first 2 shown]
	v_pk_add_f16 v4, v2, v1
	v_alignbit_b32 v3, v13, v11, 16
	v_alignbit_b32 v2, v11, v8, 16
	v_pack_b32_f16 v1, v9, v8
	v_cmp_gt_u32_e64 s[0:1], 11, v7
	v_lshlrev_b32_e32 v40, 1, v12
	v_lshlrev_b32_e32 v41, 1, v7
	ds_write_b128 v39, v[1:4]
	ds_write_b16 v39, v14 offset:16
	s_waitcnt lgkmcnt(0)
	; wave barrier
	s_waitcnt lgkmcnt(0)
                                        ; implicit-def: $vgpr16
                                        ; implicit-def: $vgpr12
                                        ; implicit-def: $vgpr17
                                        ; implicit-def: $vgpr19
                                        ; implicit-def: $vgpr18
	s_and_saveexec_b64 s[4:5], s[0:1]
	s_cbranch_execz .LBB0_13
; %bb.12:
	v_add3_u32 v1, 0, v40, v41
	v_mul_i32_i24_e32 v2, 0xffffffec, v7
	v_add3_u32 v2, v42, v2, v40
	ds_read_u16 v9, v1
	ds_read_u16 v1, v2 offset:22
	ds_read_u16 v3, v2 offset:44
	;; [unrolled: 1-line block ×15, first 2 shown]
	s_mov_b32 s16, 0x5040100
	s_waitcnt lgkmcnt(13)
	v_perm_b32 v8, v3, v1, s16
	s_waitcnt lgkmcnt(11)
	v_perm_b32 v11, v10, v4, s16
	;; [unrolled: 2-line block ×4, first 2 shown]
.LBB0_13:
	s_or_b64 exec, exec, s[4:5]
	v_sub_f16_e32 v3, v30, v38
	v_add_f16_sdwa v1, v36, v15 dst_sel:DWORD dst_unused:UNUSED_PAD src0_sel:DWORD src1_sel:WORD_1
	v_add_f16_e32 v2, v36, v0
	v_mul_f16_e32 v36, 0xb482, v3
	v_sub_f16_e32 v29, v29, v37
	v_add_f16_e32 v1, v35, v1
	v_fma_f16 v38, v2, s10, -v36
	v_add_f16_e32 v35, v35, v24
	v_mul_f16_e32 v42, 0x3853, v29
	v_add_f16_sdwa v38, v38, v15 dst_sel:DWORD dst_unused:UNUSED_PAD src0_sel:DWORD src1_sel:WORD_1
	v_fma_f16 v43, v35, s11, -v42
	v_sub_f16_e32 v28, v28, v33
	v_add_f16_e32 v1, v34, v1
	v_add_f16_e32 v38, v43, v38
	;; [unrolled: 1-line block ×3, first 2 shown]
	v_mul_f16_e32 v43, 0xba0c, v28
	v_sub_f16_e32 v31, v26, v31
	v_add_f16_e32 v1, v32, v1
	v_fma_f16 v44, v34, s14, -v43
	v_add_f16_e32 v32, v32, v22
	v_mul_f16_e32 v45, 0x3b47, v31
	s_mov_b32 s5, 0xbb47bbeb
	v_add_f16_e32 v38, v44, v38
	v_fma_f16 v26, v32, s15, -v45
	v_sub_f16_e32 v27, v25, v27
	s_mov_b32 s4, 0x36a6b08e
	v_pk_mul_f16 v25, v3, s5 op_sel_hi:[0,1]
	s_mov_b32 s10, 0xba0c3482
	v_add_f16_e32 v38, v26, v38
	v_pk_fma_f16 v26, v2, s4, v25 op_sel_hi:[0,1,1] neg_lo:[0,0,1] neg_hi:[0,0,1]
	s_mov_b32 s5, 0xb93dbbad
	v_pk_mul_f16 v47, v29, s10 op_sel_hi:[0,1]
	v_pk_add_f16 v26, v26, v15 op_sel:[0,1]
	v_pk_fma_f16 v48, v35, s5, v47 op_sel_hi:[0,1,1] neg_lo:[0,0,1] neg_hi:[0,0,1]
	s_mov_b32 s11, 0x34823b47
	v_pk_add_f16 v26, v48, v26
	s_mov_b32 s10, 0xbbad36a6
	v_pk_mul_f16 v48, v28, s11 op_sel_hi:[0,1]
	v_pk_fma_f16 v49, v34, s10, v48 op_sel_hi:[0,1,1] neg_lo:[0,0,1] neg_hi:[0,0,1]
	s_mov_b32 s14, 0x3bebb853
	v_pk_fma_f16 v25, v2, s4, v25 op_sel_hi:[0,1,1]
	v_pk_add_f16 v26, v49, v26
	s_mov_b32 s11, 0xb08e3abb
	v_pk_mul_f16 v49, v31, s14 op_sel_hi:[0,1]
	v_pk_add_f16 v25, v25, v15 op_sel:[0,1]
	v_pk_fma_f16 v47, v35, s5, v47 op_sel_hi:[0,1,1]
	v_pk_fma_f16 v50, v32, s11, v49 op_sel_hi:[0,1,1] neg_lo:[0,0,1] neg_hi:[0,0,1]
	s_mov_b32 s15, 0x3853ba0c
	v_pk_add_f16 v25, v47, v25
	v_pk_fma_f16 v47, v34, s10, v48 op_sel_hi:[0,1,1]
	v_add_f16_e32 v46, v20, v21
	v_pk_add_f16 v26, v50, v26
	s_mov_b32 s14, 0x3abbb93d
	v_pk_mul_f16 v50, v27, s15 op_sel_hi:[0,1]
	v_pk_add_f16 v25, v47, v25
	v_pk_fma_f16 v47, v32, s11, v49 op_sel_hi:[0,1,1]
	v_pk_add_f16 v25, v47, v25
	v_pk_fma_f16 v47, v46, s14, v50 op_sel_hi:[0,1,1]
	s_mov_b32 s4, 0xb93d3abb
	s_mov_b32 s5, 0xba0cb853
	v_pk_add_f16 v25, v47, v25
	v_pk_mul_f16 v47, v2, s4 op_sel_hi:[0,1]
	v_pk_mul_f16 v3, v3, s5 op_sel_hi:[0,1]
	s_mov_b32 s5, 0x3bebbb47
	s_mov_b32 s10, 0x5040100
	v_mul_f16_e32 v30, 0xbbad, v2
	v_pk_fma_f16 v2, v2, s4, v3 op_sel_hi:[0,1,1] neg_lo:[0,0,1] neg_hi:[0,0,1]
	s_mov_b32 s4, 0xb08e36a6
	v_pk_mul_f16 v29, v29, s5 op_sel_hi:[0,1]
	s_mov_b32 s5, 0xb853bbeb
	v_perm_b32 v20, v47, v20, s10
	v_pack_b32_f16 v1, v1, v3
	v_mul_f16_e32 v37, 0x3abb, v35
	v_pk_add_f16 v2, v2, v15 op_sel:[0,1]
	v_pk_mul_f16 v48, v35, s4 op_sel_hi:[0,1]
	v_pk_fma_f16 v49, v35, s4, v29 op_sel_hi:[0,1,1]
	v_pk_fma_f16 v35, v35, s4, v29 op_sel_hi:[0,1,1] neg_lo:[0,0,1] neg_hi:[0,0,1]
	s_mov_b32 s4, 0x3abbb08e
	v_pk_mul_f16 v28, v28, s5 op_sel_hi:[0,1]
	s_mov_b32 s5, 0xb482ba0c
	v_pk_add_f16 v1, v20, v1
	v_bfi_b32 v20, s6, v21, v15
	v_mul_f16_e32 v33, 0xb93d, v34
	v_pk_fma_f16 v51, v46, s14, v50 op_sel_hi:[0,1,1] neg_lo:[0,0,1] neg_hi:[0,0,1]
	v_pk_add_f16 v2, v35, v2
	v_pk_mul_f16 v35, v34, s4 op_sel_hi:[0,1]
	v_pk_fma_f16 v50, v34, s4, v28 op_sel_hi:[0,1,1]
	v_pk_fma_f16 v34, v34, s4, v28 op_sel_hi:[0,1,1] neg_lo:[0,0,1] neg_hi:[0,0,1]
	s_mov_b32 s4, 0xbbadb93d
	v_pk_mul_f16 v31, v31, s5 op_sel_hi:[0,1]
	v_pk_add_f16 v1, v20, v1
	v_perm_b32 v20, v49, v22, s10
	v_pk_add_f16 v26, v51, v26
	v_pk_fma_f16 v51, v32, s4, v31 op_sel_hi:[0,1,1]
	v_pk_add_f16 v1, v20, v1
	v_perm_b32 v20, v50, v23, s10
	v_pk_add_f16 v1, v20, v1
	v_perm_b32 v20, v51, v24, s10
	s_mov_b32 s5, 0x3b47b482
	v_pk_add_f16 v2, v34, v2
	v_pk_mul_f16 v34, v32, s4 op_sel_hi:[0,1]
	v_pk_add_f16 v1, v20, v1
	v_pk_fma_f16 v20, v32, s4, v31 op_sel_hi:[0,1,1] neg_lo:[0,0,1] neg_hi:[0,0,1]
	s_mov_b32 s4, 0x36a6bbad
	v_pk_mul_f16 v22, v27, s5 op_sel_hi:[0,1]
	v_pk_add_f16 v2, v20, v2
	v_pk_fma_f16 v20, v46, s4, v22 op_sel_hi:[0,1,1]
	v_perm_b32 v0, v20, v0, s10
	v_pk_add_f16 v0, v0, v1
	v_pk_fma_f16 v1, v46, s4, v22 op_sel_hi:[0,1,1] neg_lo:[0,0,1] neg_hi:[0,0,1]
	v_pk_add_f16 v20, v1, v2
	v_alignbit_b32 v2, v30, v47, 16
	v_alignbit_b32 v3, v36, v3, 16
	v_pk_add_f16 v2, v2, v3
	v_pk_add_f16 v2, v2, v15 op_sel:[0,1]
	v_alignbit_b32 v3, v37, v48, 16
	v_alignbit_b32 v15, v42, v29, 16
	v_pk_add_f16 v3, v3, v15
	v_pk_add_f16 v2, v3, v2
	v_alignbit_b32 v3, v33, v35, 16
	v_alignbit_b32 v15, v43, v28, 16
	v_mul_f16_e32 v44, 0x36a6, v32
	v_pk_add_f16 v3, v3, v15
	v_pk_add_f16 v2, v3, v2
	v_alignbit_b32 v3, v44, v34, 16
	v_alignbit_b32 v15, v45, v31, 16
	v_pk_mul_f16 v21, v46, s4 op_sel_hi:[0,1]
	v_mul_f16_e32 v1, 0xb08e, v46
	v_mul_f16_e32 v23, 0xbbeb, v27
	v_pk_add_f16 v3, v3, v15
	v_pk_add_f16 v2, v3, v2
	v_alignbit_b32 v1, v1, v21, 16
	v_alignbit_b32 v3, v23, v22, 16
	v_pk_add_f16 v1, v1, v3
	v_pk_add_f16 v2, v1, v2
	v_fma_f16 v1, v46, s7, -v23
	v_add_f16_e32 v24, v1, v38
	v_lshrrev_b32_e32 v15, 16, v0
	v_bfi_b32 v3, s6, v24, v20
	v_alignbit_b32 v1, v25, v25, 16
	s_waitcnt lgkmcnt(0)
	; wave barrier
	s_waitcnt lgkmcnt(0)
	ds_write_b128 v39, v[0:3]
	ds_write_b32 v39, v26 offset:16
	ds_write_b16 v39, v20 offset:20
	s_waitcnt lgkmcnt(0)
	; wave barrier
	s_waitcnt lgkmcnt(0)
                                        ; implicit-def: $vgpr3
                                        ; implicit-def: $vgpr1
                                        ; implicit-def: $vgpr21
                                        ; implicit-def: $vgpr23
                                        ; implicit-def: $vgpr22
	s_and_saveexec_b64 s[4:5], s[0:1]
	s_cbranch_execnz .LBB0_16
; %bb.14:
	s_or_b64 exec, exec, s[4:5]
	s_and_b64 s[0:1], vcc, s[0:1]
	s_and_saveexec_b64 s[4:5], s[0:1]
	s_cbranch_execnz .LBB0_17
.LBB0_15:
	s_endpgm
.LBB0_16:
	v_add3_u32 v0, 0, v40, v41
	v_add3_u32 v2, 0, v41, v40
	ds_read_u16 v0, v0
	ds_read_u16 v15, v2 offset:22
	ds_read_u16 v25, v2 offset:44
	;; [unrolled: 1-line block ×15, first 2 shown]
	s_waitcnt lgkmcnt(6)
	v_perm_b32 v26, v30, v26, s10
	s_waitcnt lgkmcnt(5)
	v_perm_b32 v20, v20, v31, s10
	v_perm_b32 v2, v29, v28, s10
	;; [unrolled: 1-line block ×3, first 2 shown]
	s_or_b64 exec, exec, s[4:5]
	s_and_b64 s[0:1], vcc, s[0:1]
	s_and_saveexec_b64 s[4:5], s[0:1]
	s_cbranch_execz .LBB0_15
.LBB0_17:
	v_mul_u32_u24_e32 v27, 15, v7
	v_lshlrev_b32_e32 v42, 2, v27
	global_load_dwordx4 v[27:30], v42, s[8:9] offset:16
	global_load_dwordx4 v[31:34], v42, s[8:9]
	global_load_dwordx4 v[35:38], v42, s[8:9] offset:32
	global_load_dwordx3 v[39:41], v42, s[8:9] offset:48
	v_lshrrev_b32_e32 v47, 16, v4
	v_lshrrev_b32_e32 v44, 16, v25
	;; [unrolled: 1-line block ×6, first 2 shown]
	s_movk_i32 s0, 0x39a8
	s_mov_b32 s1, 0xb9a8
	s_mov_b32 s4, 0xb61f
	;; [unrolled: 1-line block ×3, first 2 shown]
	s_movk_i32 s6, 0x3b64
	s_movk_i32 s7, 0x361f
	s_waitcnt vmcnt(3)
	v_lshrrev_b32_e32 v50, 16, v29
	v_mul_f16_sdwa v51, v26, v30 dst_sel:DWORD dst_unused:UNUSED_PAD src0_sel:DWORD src1_sel:WORD_1
	v_lshrrev_b32_e32 v49, 16, v28
	v_mul_f16_sdwa v56, v14, v30 dst_sel:DWORD dst_unused:UNUSED_PAD src0_sel:DWORD src1_sel:WORD_1
	v_fma_f16 v14, v14, v30, -v51
	v_mul_f16_sdwa v51, v20, v50 dst_sel:DWORD dst_unused:UNUSED_PAD src0_sel:WORD_1 src1_sel:DWORD
	v_lshrrev_b32_e32 v48, 16, v27
	v_mul_f16_e32 v54, v24, v28
	v_mul_f16_e32 v24, v24, v49
	v_fma_f16 v51, v47, v29, -v51
	v_mul_f16_sdwa v29, v20, v29 dst_sel:DWORD dst_unused:UNUSED_PAD src0_sel:WORD_1 src1_sel:DWORD
	v_fma_f16 v54, v4, v49, v54
	v_fma_f16 v4, v4, v28, -v24
	s_waitcnt vmcnt(2)
	v_mul_f16_sdwa v28, v44, v32 dst_sel:DWORD dst_unused:UNUSED_PAD src0_sel:DWORD src1_sel:WORD_1
	v_mul_f16_sdwa v55, v2, v27 dst_sel:DWORD dst_unused:UNUSED_PAD src0_sel:WORD_1 src1_sel:DWORD
	v_fma_f16 v26, v26, v30, v56
	v_mul_f16_sdwa v30, v2, v48 dst_sel:DWORD dst_unused:UNUSED_PAD src0_sel:WORD_1 src1_sel:DWORD
	v_fma_f16 v29, v47, v50, v29
	s_waitcnt vmcnt(1)
	v_mul_f16_sdwa v50, v10, v36 dst_sel:DWORD dst_unused:UNUSED_PAD src0_sel:DWORD src1_sel:WORD_1
	v_fma_f16 v27, v13, v27, -v30
	v_mul_f16_sdwa v30, v20, v36 dst_sel:DWORD dst_unused:UNUSED_PAD src0_sel:DWORD src1_sel:WORD_1
	v_fma_f16 v13, v13, v48, v55
	s_waitcnt vmcnt(0)
	v_lshrrev_b32_e32 v48, 16, v41
	v_mul_f16_sdwa v47, v43, v32 dst_sel:DWORD dst_unused:UNUSED_PAD src0_sel:DWORD src1_sel:WORD_1
	v_fma_f16 v28, v43, v32, -v28
	v_mul_f16_sdwa v43, v15, v31 dst_sel:DWORD dst_unused:UNUSED_PAD src0_sel:DWORD src1_sel:WORD_1
	v_fma_f16 v20, v20, v36, v50
	s_waitcnt lgkmcnt(0)
	v_mul_f16_e32 v50, v22, v41
	v_lshrrev_b32_e32 v52, 16, v34
	v_mul_f16_e32 v53, v2, v34
	v_lshrrev_b32_e32 v49, 16, v38
	;; [unrolled: 2-line block ×3, first 2 shown]
	v_lshrrev_b32_e32 v57, 16, v40
	v_mul_f16_e32 v55, v23, v40
	v_fma_f16 v10, v10, v36, -v30
	v_mul_f16_sdwa v30, v46, v35 dst_sel:DWORD dst_unused:UNUSED_PAD src0_sel:DWORD src1_sel:WORD_1
	v_fma_f16 v32, v44, v32, v47
	v_mul_f16_e32 v44, v21, v39
	v_mul_f16_sdwa v36, v25, v33 dst_sel:DWORD dst_unused:UNUSED_PAD src0_sel:DWORD src1_sel:WORD_1
	v_fma_f16 v50, v18, v48, v50
	v_mul_f16_e32 v22, v22, v48
	v_mul_f16_sdwa v48, v3, v37 dst_sel:DWORD dst_unused:UNUSED_PAD src0_sel:DWORD src1_sel:WORD_1
	v_fma_f16 v43, v8, v31, -v43
	v_mul_f16_sdwa v8, v8, v31 dst_sel:DWORD dst_unused:UNUSED_PAD src0_sel:DWORD src1_sel:WORD_1
	v_fma_f16 v47, v19, v57, v55
	v_mul_f16_e32 v23, v23, v57
	v_fma_f16 v36, v11, v33, -v36
	v_mul_f16_sdwa v11, v11, v33 dst_sel:DWORD dst_unused:UNUSED_PAD src0_sel:DWORD src1_sel:WORD_1
	v_fma_f16 v53, v42, v52, v53
	v_fma_f16 v24, v12, v49, v24
	v_fma_f16 v30, v45, v35, -v30
	v_fma_f16 v44, v17, v56, v44
	v_fma_f16 v48, v16, v37, -v48
	v_mul_f16_e32 v21, v21, v56
	v_mul_f16_sdwa v16, v16, v37 dst_sel:DWORD dst_unused:UNUSED_PAD src0_sel:DWORD src1_sel:WORD_1
	v_fma_f16 v8, v15, v31, v8
	v_mul_f16_sdwa v31, v45, v35 dst_sel:DWORD dst_unused:UNUSED_PAD src0_sel:DWORD src1_sel:WORD_1
	v_mul_f16_e32 v2, v2, v52
	v_mul_f16_e32 v1, v1, v49
	v_sub_f16_e32 v14, v9, v14
	v_sub_f16_e32 v24, v53, v24
	;; [unrolled: 1-line block ×4, first 2 shown]
	v_fma_f16 v19, v19, v40, -v23
	v_sub_f16_e32 v23, v43, v30
	v_sub_f16_e32 v30, v13, v44
	;; [unrolled: 1-line block ×4, first 2 shown]
	v_fma_f16 v18, v18, v41, -v22
	v_fma_f16 v17, v17, v39, -v21
	v_fma_f16 v11, v25, v33, v11
	v_fma_f16 v3, v3, v37, v16
	;; [unrolled: 1-line block ×3, first 2 shown]
	v_fma_f16 v2, v42, v34, -v2
	v_fma_f16 v1, v12, v38, -v1
	v_sub_f16_e32 v20, v32, v20
	v_sub_f16_e32 v21, v14, v24
	;; [unrolled: 1-line block ×12, first 2 shown]
	v_fma_f16 v48, v22, s0, v21
	v_add_f16_e32 v50, v20, v19
	v_fma_f16 v25, v41, s0, v39
	v_add_f16_e32 v18, v3, v16
	v_add_f16_e32 v34, v31, v17
	;; [unrolled: 1-line block ×3, first 2 shown]
	v_fma_f16 v48, v50, s1, v48
	v_fma_f16 v25, v18, s1, v25
	;; [unrolled: 1-line block ×4, first 2 shown]
	v_fma_f16 v55, v21, 2.0, -v48
	v_fma_f16 v15, v39, 2.0, -v25
	v_fma_f16 v35, v41, s0, v35
	v_fma_f16 v38, v22, s0, v38
	;; [unrolled: 1-line block ×3, first 2 shown]
	v_fma_f16 v37, v34, 2.0, -v35
	v_fma_f16 v42, v12, 2.0, -v38
	v_fma_f16 v33, v37, s5, v33
	v_fma_f16 v37, v37, s4, v42
	v_fma_f16 v21, v14, 2.0, -v21
	v_fma_f16 v22, v10, 2.0, -v22
	;; [unrolled: 1-line block ×4, first 2 shown]
	v_fma_f16 v15, v15, s6, v37
	v_fma_f16 v37, v22, s1, v21
	v_fma_f16 v45, v20, 2.0, -v50
	v_fma_f16 v46, v41, s1, v39
	v_fma_f16 v18, v3, 2.0, -v18
	v_fma_f16 v34, v31, 2.0, -v34
	v_fma_f16 v37, v45, s1, v37
	v_fma_f16 v46, v18, s1, v46
	;; [unrolled: 1-line block ×3, first 2 shown]
	v_fma_f16 v9, v9, 2.0, -v14
	v_fma_f16 v1, v2, 2.0, -v1
	;; [unrolled: 1-line block ×12, first 2 shown]
	v_fma_f16 v49, v46, s7, v37
	v_fma_f16 v18, v41, s0, v18
	v_sub_f16_e32 v1, v9, v1
	v_sub_f16_e32 v14, v2, v14
	v_fma_f16 v23, v43, 2.0, -v23
	v_fma_f16 v17, v27, 2.0, -v17
	;; [unrolled: 1-line block ×4, first 2 shown]
	v_sub_f16_e32 v13, v8, v13
	v_sub_f16_e32 v16, v30, v16
	;; [unrolled: 1-line block ×4, first 2 shown]
	v_fma_f16 v41, v18, s5, v49
	v_fma_f16 v49, v25, s6, v48
	v_sub_f16_e32 v20, v1, v14
	v_sub_f16_e32 v17, v23, v17
	;; [unrolled: 1-line block ×3, first 2 shown]
	v_add_f16_e32 v31, v13, v16
	v_add_f16_e32 v19, v24, v4
	v_fma_f16 v12, v26, 2.0, -v12
	v_fma_f16 v49, v35, s4, v49
	v_fma_f16 v35, v35, s6, v38
	v_sub_f16_e32 v27, v17, v11
	v_fma_f16 v26, v31, s0, v19
	v_fma_f16 v36, v1, 2.0, -v20
	v_fma_f16 v1, v9, 2.0, -v1
	;; [unrolled: 1-line block ×5, first 2 shown]
	v_fma_f16 v25, v25, s7, v35
	v_fma_f16 v29, v27, s0, v20
	v_fma_f16 v26, v27, s0, v26
	v_fma_f16 v27, v17, 2.0, -v27
	v_sub_f16_e32 v4, v1, v4
	v_sub_f16_e32 v3, v8, v3
	v_fma_f16 v10, v23, 2.0, -v17
	v_fma_f16 v11, v30, 2.0, -v16
	;; [unrolled: 1-line block ×3, first 2 shown]
	v_fma_f16 v29, v31, s1, v29
	v_fma_f16 v38, v27, s1, v36
	v_fma_f16 v31, v13, 2.0, -v31
	v_fma_f16 v40, v24, 2.0, -v19
	v_sub_f16_e32 v9, v4, v3
	v_fma_f16 v0, v0, 2.0, -v24
	v_fma_f16 v2, v2, 2.0, -v14
	v_sub_f16_e32 v11, v10, v11
	v_fma_f16 v45, v45, s1, v12
	v_fma_f16 v38, v31, s1, v38
	;; [unrolled: 1-line block ×3, first 2 shown]
	v_sub_f16_e32 v2, v0, v2
	v_fma_f16 v17, v4, 2.0, -v9
	v_fma_f16 v4, v1, 2.0, -v4
	;; [unrolled: 1-line block ×3, first 2 shown]
	v_fma_f16 v22, v22, s0, v45
	v_fma_f16 v27, v27, s0, v31
	v_add_f16_e32 v13, v2, v11
	v_sub_f16_e32 v10, v4, v1
	v_fma_f16 v11, v0, 2.0, -v2
	v_mad_u64_u32 v[0:1], s[0:1], s2, v7, 0
	v_fma_f16 v21, v21, 2.0, -v37
	v_fma_f16 v24, v39, 2.0, -v46
	v_fma_f16 v45, v18, s7, v22
	v_fma_f16 v30, v24, s5, v21
	v_fma_f16 v18, v34, 2.0, -v18
	v_fma_f16 v12, v12, 2.0, -v22
	;; [unrolled: 1-line block ×3, first 2 shown]
	v_fma_f16 v30, v18, s4, v30
	v_fma_f16 v18, v18, s5, v12
	v_fma_f16 v2, v8, 2.0, -v3
	v_fma_f16 v18, v24, s7, v18
	v_sub_f16_e32 v8, v11, v2
	v_mad_u64_u32 v[1:2], s[0:1], s3, v7, v[1:2]
	v_add_u32_e32 v24, 11, v7
	v_mad_u64_u32 v[2:3], s[0:1], s2, v24, 0
	v_fma_f16 v45, v46, s6, v45
	v_fma_f16 v32, v22, 2.0, -v45
	v_fma_f16 v22, v4, 2.0, -v10
	v_mov_b32_e32 v4, s13
	v_add_co_u32_e32 v34, vcc, s12, v5
	v_lshlrev_b64 v[0:1], 2, v[0:1]
	v_addc_co_u32_e32 v6, vcc, v4, v6, vcc
	v_mad_u64_u32 v[3:4], s[0:1], s3, v24, v[3:4]
	v_fma_f16 v11, v11, 2.0, -v8
	v_add_co_u32_e32 v0, vcc, v34, v0
	v_addc_co_u32_e32 v1, vcc, v6, v1, vcc
	v_pack_b32_f16 v4, v22, v11
	global_store_dword v[0:1], v4, off
	v_add_u32_e32 v4, 22, v7
	v_lshlrev_b64 v[0:1], 2, v[2:3]
	v_mad_u64_u32 v[2:3], s[0:1], s2, v4, 0
	v_fma_f16 v21, v21, 2.0, -v30
	v_fma_f16 v12, v12, 2.0, -v18
	v_pack_b32_f16 v11, v21, v12
	v_mad_u64_u32 v[3:4], s[0:1], s3, v4, v[3:4]
	v_add_u32_e32 v12, 33, v7
	v_mad_u64_u32 v[4:5], s[0:1], s2, v12, 0
	v_add_co_u32_e32 v0, vcc, v34, v0
	v_addc_co_u32_e32 v1, vcc, v6, v1, vcc
	global_store_dword v[0:1], v11, off
	v_lshlrev_b64 v[0:1], 2, v[2:3]
	v_mov_b32_e32 v2, v5
	v_mad_u64_u32 v[2:3], s[0:1], s3, v12, v[2:3]
	v_fma_f16 v14, v36, 2.0, -v38
	v_fma_f16 v16, v40, 2.0, -v27
	v_add_co_u32_e32 v0, vcc, v34, v0
	v_addc_co_u32_e32 v1, vcc, v6, v1, vcc
	v_pack_b32_f16 v3, v14, v16
	v_mov_b32_e32 v5, v2
	global_store_dword v[0:1], v3, off
	v_lshlrev_b64 v[0:1], 2, v[4:5]
	v_add_u32_e32 v4, 44, v7
	v_mad_u64_u32 v[2:3], s[0:1], s2, v4, 0
	v_add_u32_e32 v12, 55, v7
	v_fma_f16 v31, v55, 2.0, -v33
	v_mad_u64_u32 v[3:4], s[0:1], s3, v4, v[3:4]
	v_mad_u64_u32 v[4:5], s[0:1], s2, v12, 0
	v_fma_f16 v42, v42, 2.0, -v15
	v_add_co_u32_e32 v0, vcc, v34, v0
	v_addc_co_u32_e32 v1, vcc, v6, v1, vcc
	v_pack_b32_f16 v11, v31, v42
	global_store_dword v[0:1], v11, off
	v_lshlrev_b64 v[0:1], 2, v[2:3]
	v_mov_b32_e32 v2, v5
	v_mad_u64_u32 v[2:3], s[0:1], s3, v12, v[2:3]
	v_add_co_u32_e32 v0, vcc, v34, v0
	v_addc_co_u32_e32 v1, vcc, v6, v1, vcc
	v_pack_b32_f16 v3, v17, v23
	v_mov_b32_e32 v5, v2
	global_store_dword v[0:1], v3, off
	v_lshlrev_b64 v[0:1], 2, v[4:5]
	v_add_u32_e32 v4, 0x42, v7
	v_mad_u64_u32 v[2:3], s[0:1], s2, v4, 0
	v_add_u32_e32 v12, 0x4d, v7
	v_fma_f16 v28, v37, 2.0, -v41
	v_mad_u64_u32 v[3:4], s[0:1], s3, v4, v[3:4]
	v_mad_u64_u32 v[4:5], s[0:1], s2, v12, 0
	v_add_co_u32_e32 v0, vcc, v34, v0
	v_addc_co_u32_e32 v1, vcc, v6, v1, vcc
	v_pack_b32_f16 v11, v28, v32
	global_store_dword v[0:1], v11, off
	v_lshlrev_b64 v[0:1], 2, v[2:3]
	v_mov_b32_e32 v2, v5
	v_mad_u64_u32 v[2:3], s[0:1], s3, v12, v[2:3]
	v_fma_f16 v20, v20, 2.0, -v29
	v_fma_f16 v19, v19, 2.0, -v26
	v_add_co_u32_e32 v0, vcc, v34, v0
	v_addc_co_u32_e32 v1, vcc, v6, v1, vcc
	v_pack_b32_f16 v3, v20, v19
	v_mov_b32_e32 v5, v2
	global_store_dword v[0:1], v3, off
	v_lshlrev_b64 v[0:1], 2, v[4:5]
	v_add_u32_e32 v4, 0x58, v7
	v_mad_u64_u32 v[2:3], s[0:1], s2, v4, 0
	v_add_u32_e32 v12, 0x63, v7
	v_fma_f16 v48, v48, 2.0, -v49
	v_mad_u64_u32 v[3:4], s[0:1], s3, v4, v[3:4]
	v_mad_u64_u32 v[4:5], s[0:1], s2, v12, 0
	v_add_co_u32_e32 v0, vcc, v34, v0
	v_addc_co_u32_e32 v1, vcc, v6, v1, vcc
	v_pack_b32_f16 v11, v48, v35
	global_store_dword v[0:1], v11, off
	v_lshlrev_b64 v[0:1], 2, v[2:3]
	v_mov_b32_e32 v2, v5
	v_mad_u64_u32 v[2:3], s[0:1], s3, v12, v[2:3]
	v_add_co_u32_e32 v0, vcc, v34, v0
	v_addc_co_u32_e32 v1, vcc, v6, v1, vcc
	v_pack_b32_f16 v3, v10, v8
	v_mov_b32_e32 v5, v2
	global_store_dword v[0:1], v3, off
	v_lshlrev_b64 v[0:1], 2, v[4:5]
	v_add_u32_e32 v4, 0x6e, v7
	v_mad_u64_u32 v[2:3], s[0:1], s2, v4, 0
	v_add_u32_e32 v10, 0x79, v7
	v_add_co_u32_e32 v0, vcc, v34, v0
	v_mad_u64_u32 v[3:4], s[0:1], s3, v4, v[3:4]
	v_mad_u64_u32 v[4:5], s[0:1], s2, v10, 0
	v_addc_co_u32_e32 v1, vcc, v6, v1, vcc
	v_pack_b32_f16 v8, v30, v18
	global_store_dword v[0:1], v8, off
	v_lshlrev_b64 v[0:1], 2, v[2:3]
	v_mov_b32_e32 v2, v5
	v_mad_u64_u32 v[2:3], s[0:1], s3, v10, v[2:3]
	v_add_co_u32_e32 v0, vcc, v34, v0
	v_addc_co_u32_e32 v1, vcc, v6, v1, vcc
	v_pack_b32_f16 v3, v38, v27
	v_mov_b32_e32 v5, v2
	global_store_dword v[0:1], v3, off
	v_lshlrev_b64 v[0:1], 2, v[4:5]
	v_add_u32_e32 v4, 0x84, v7
	v_mad_u64_u32 v[2:3], s[0:1], s2, v4, 0
	v_add_u32_e32 v10, 0x8f, v7
	v_add_co_u32_e32 v0, vcc, v34, v0
	v_mad_u64_u32 v[3:4], s[0:1], s3, v4, v[3:4]
	v_mad_u64_u32 v[4:5], s[0:1], s2, v10, 0
	;; [unrolled: 18-line block ×3, first 2 shown]
	v_addc_co_u32_e32 v1, vcc, v6, v1, vcc
	v_pack_b32_f16 v8, v41, v45
	global_store_dword v[0:1], v8, off
	v_lshlrev_b64 v[0:1], 2, v[2:3]
	v_mov_b32_e32 v2, v5
	v_mad_u64_u32 v[2:3], s[0:1], s3, v7, v[2:3]
	v_add_co_u32_e32 v0, vcc, v34, v0
	v_addc_co_u32_e32 v1, vcc, v6, v1, vcc
	v_pack_b32_f16 v3, v29, v26
	v_mov_b32_e32 v5, v2
	global_store_dword v[0:1], v3, off
	v_lshlrev_b64 v[0:1], 2, v[4:5]
	v_pack_b32_f16 v2, v49, v25
	v_add_co_u32_e32 v0, vcc, v34, v0
	v_addc_co_u32_e32 v1, vcc, v6, v1, vcc
	global_store_dword v[0:1], v2, off
	s_endpgm
	.section	.rodata,"a",@progbits
	.p2align	6, 0x0
	.amdhsa_kernel fft_rtc_fwd_len176_factors_11_16_wgs_64_tpt_16_halfLds_half_ip_CI_sbrr_dirReg
		.amdhsa_group_segment_fixed_size 0
		.amdhsa_private_segment_fixed_size 0
		.amdhsa_kernarg_size 88
		.amdhsa_user_sgpr_count 6
		.amdhsa_user_sgpr_private_segment_buffer 1
		.amdhsa_user_sgpr_dispatch_ptr 0
		.amdhsa_user_sgpr_queue_ptr 0
		.amdhsa_user_sgpr_kernarg_segment_ptr 1
		.amdhsa_user_sgpr_dispatch_id 0
		.amdhsa_user_sgpr_flat_scratch_init 0
		.amdhsa_user_sgpr_private_segment_size 0
		.amdhsa_uses_dynamic_stack 0
		.amdhsa_system_sgpr_private_segment_wavefront_offset 0
		.amdhsa_system_sgpr_workgroup_id_x 1
		.amdhsa_system_sgpr_workgroup_id_y 0
		.amdhsa_system_sgpr_workgroup_id_z 0
		.amdhsa_system_sgpr_workgroup_info 0
		.amdhsa_system_vgpr_workitem_id 0
		.amdhsa_next_free_vgpr 58
		.amdhsa_next_free_sgpr 24
		.amdhsa_reserve_vcc 1
		.amdhsa_reserve_flat_scratch 0
		.amdhsa_float_round_mode_32 0
		.amdhsa_float_round_mode_16_64 0
		.amdhsa_float_denorm_mode_32 3
		.amdhsa_float_denorm_mode_16_64 3
		.amdhsa_dx10_clamp 1
		.amdhsa_ieee_mode 1
		.amdhsa_fp16_overflow 0
		.amdhsa_exception_fp_ieee_invalid_op 0
		.amdhsa_exception_fp_denorm_src 0
		.amdhsa_exception_fp_ieee_div_zero 0
		.amdhsa_exception_fp_ieee_overflow 0
		.amdhsa_exception_fp_ieee_underflow 0
		.amdhsa_exception_fp_ieee_inexact 0
		.amdhsa_exception_int_div_zero 0
	.end_amdhsa_kernel
	.text
.Lfunc_end0:
	.size	fft_rtc_fwd_len176_factors_11_16_wgs_64_tpt_16_halfLds_half_ip_CI_sbrr_dirReg, .Lfunc_end0-fft_rtc_fwd_len176_factors_11_16_wgs_64_tpt_16_halfLds_half_ip_CI_sbrr_dirReg
                                        ; -- End function
	.section	.AMDGPU.csdata,"",@progbits
; Kernel info:
; codeLenInByte = 7004
; NumSgprs: 28
; NumVgprs: 58
; ScratchSize: 0
; MemoryBound: 0
; FloatMode: 240
; IeeeMode: 1
; LDSByteSize: 0 bytes/workgroup (compile time only)
; SGPRBlocks: 3
; VGPRBlocks: 14
; NumSGPRsForWavesPerEU: 28
; NumVGPRsForWavesPerEU: 58
; Occupancy: 4
; WaveLimiterHint : 1
; COMPUTE_PGM_RSRC2:SCRATCH_EN: 0
; COMPUTE_PGM_RSRC2:USER_SGPR: 6
; COMPUTE_PGM_RSRC2:TRAP_HANDLER: 0
; COMPUTE_PGM_RSRC2:TGID_X_EN: 1
; COMPUTE_PGM_RSRC2:TGID_Y_EN: 0
; COMPUTE_PGM_RSRC2:TGID_Z_EN: 0
; COMPUTE_PGM_RSRC2:TIDIG_COMP_CNT: 0
	.type	__hip_cuid_37d8dceecfddbb3a,@object ; @__hip_cuid_37d8dceecfddbb3a
	.section	.bss,"aw",@nobits
	.globl	__hip_cuid_37d8dceecfddbb3a
__hip_cuid_37d8dceecfddbb3a:
	.byte	0                               ; 0x0
	.size	__hip_cuid_37d8dceecfddbb3a, 1

	.ident	"AMD clang version 19.0.0git (https://github.com/RadeonOpenCompute/llvm-project roc-6.4.0 25133 c7fe45cf4b819c5991fe208aaa96edf142730f1d)"
	.section	".note.GNU-stack","",@progbits
	.addrsig
	.addrsig_sym __hip_cuid_37d8dceecfddbb3a
	.amdgpu_metadata
---
amdhsa.kernels:
  - .args:
      - .actual_access:  read_only
        .address_space:  global
        .offset:         0
        .size:           8
        .value_kind:     global_buffer
      - .offset:         8
        .size:           8
        .value_kind:     by_value
      - .actual_access:  read_only
        .address_space:  global
        .offset:         16
        .size:           8
        .value_kind:     global_buffer
      - .actual_access:  read_only
        .address_space:  global
        .offset:         24
        .size:           8
        .value_kind:     global_buffer
      - .offset:         32
        .size:           8
        .value_kind:     by_value
      - .actual_access:  read_only
        .address_space:  global
        .offset:         40
        .size:           8
        .value_kind:     global_buffer
      - .actual_access:  read_only
        .address_space:  global
        .offset:         48
        .size:           8
        .value_kind:     global_buffer
      - .offset:         56
        .size:           4
        .value_kind:     by_value
      - .actual_access:  read_only
        .address_space:  global
        .offset:         64
        .size:           8
        .value_kind:     global_buffer
      - .actual_access:  read_only
        .address_space:  global
        .offset:         72
        .size:           8
        .value_kind:     global_buffer
      - .address_space:  global
        .offset:         80
        .size:           8
        .value_kind:     global_buffer
    .group_segment_fixed_size: 0
    .kernarg_segment_align: 8
    .kernarg_segment_size: 88
    .language:       OpenCL C
    .language_version:
      - 2
      - 0
    .max_flat_workgroup_size: 64
    .name:           fft_rtc_fwd_len176_factors_11_16_wgs_64_tpt_16_halfLds_half_ip_CI_sbrr_dirReg
    .private_segment_fixed_size: 0
    .sgpr_count:     28
    .sgpr_spill_count: 0
    .symbol:         fft_rtc_fwd_len176_factors_11_16_wgs_64_tpt_16_halfLds_half_ip_CI_sbrr_dirReg.kd
    .uniform_work_group_size: 1
    .uses_dynamic_stack: false
    .vgpr_count:     58
    .vgpr_spill_count: 0
    .wavefront_size: 64
amdhsa.target:   amdgcn-amd-amdhsa--gfx906
amdhsa.version:
  - 1
  - 2
...

	.end_amdgpu_metadata
